;; amdgpu-corpus repo=ROCm/rocFFT kind=compiled arch=gfx950 opt=O3
	.text
	.amdgcn_target "amdgcn-amd-amdhsa--gfx950"
	.amdhsa_code_object_version 6
	.protected	fft_rtc_back_len616_factors_11_7_8_wgs_88_tpt_88_half_op_CI_CI_sbrr_dirReg ; -- Begin function fft_rtc_back_len616_factors_11_7_8_wgs_88_tpt_88_half_op_CI_CI_sbrr_dirReg
	.globl	fft_rtc_back_len616_factors_11_7_8_wgs_88_tpt_88_half_op_CI_CI_sbrr_dirReg
	.p2align	8
	.type	fft_rtc_back_len616_factors_11_7_8_wgs_88_tpt_88_half_op_CI_CI_sbrr_dirReg,@function
fft_rtc_back_len616_factors_11_7_8_wgs_88_tpt_88_half_op_CI_CI_sbrr_dirReg: ; @fft_rtc_back_len616_factors_11_7_8_wgs_88_tpt_88_half_op_CI_CI_sbrr_dirReg
; %bb.0:
	s_load_dwordx4 s[12:15], s[0:1], 0x18
	s_load_dwordx4 s[8:11], s[0:1], 0x0
	;; [unrolled: 1-line block ×3, first 2 shown]
	v_mul_u32_u24_e32 v1, 0x2e9, v0
	v_add_u32_sdwa v10, s2, v1 dst_sel:DWORD dst_unused:UNUSED_PAD src0_sel:DWORD src1_sel:WORD_1
	s_waitcnt lgkmcnt(0)
	s_load_dwordx2 s[18:19], s[12:13], 0x0
	s_load_dwordx2 s[16:17], s[14:15], 0x0
	v_mov_b32_e32 v8, 0
	v_cmp_lt_u64_e64 s[2:3], s[10:11], 2
	v_mov_b32_e32 v11, v8
	s_and_b64 vcc, exec, s[2:3]
	v_mov_b64_e32 v[6:7], 0
	s_cbranch_vccnz .LBB0_8
; %bb.1:
	s_load_dwordx2 s[2:3], s[0:1], 0x10
	s_add_u32 s20, s14, 8
	s_addc_u32 s21, s15, 0
	s_add_u32 s22, s12, 8
	s_addc_u32 s23, s13, 0
	s_waitcnt lgkmcnt(0)
	s_add_u32 s24, s2, 8
	v_mov_b64_e32 v[6:7], 0
	s_addc_u32 s25, s3, 0
	s_mov_b64 s[26:27], 1
	v_mov_b64_e32 v[2:3], v[6:7]
.LBB0_2:                                ; =>This Inner Loop Header: Depth=1
	s_load_dwordx2 s[28:29], s[24:25], 0x0
                                        ; implicit-def: $vgpr4_vgpr5
	s_waitcnt lgkmcnt(0)
	v_or_b32_e32 v9, s29, v11
	v_cmp_ne_u64_e32 vcc, 0, v[8:9]
	s_and_saveexec_b64 s[2:3], vcc
	s_xor_b64 s[30:31], exec, s[2:3]
	s_cbranch_execz .LBB0_4
; %bb.3:                                ;   in Loop: Header=BB0_2 Depth=1
	v_cvt_f32_u32_e32 v1, s28
	v_cvt_f32_u32_e32 v4, s29
	s_sub_u32 s2, 0, s28
	s_subb_u32 s3, 0, s29
	v_fmac_f32_e32 v1, 0x4f800000, v4
	v_rcp_f32_e32 v1, v1
	s_nop 0
	v_mul_f32_e32 v1, 0x5f7ffffc, v1
	v_mul_f32_e32 v4, 0x2f800000, v1
	v_trunc_f32_e32 v4, v4
	v_fmac_f32_e32 v1, 0xcf800000, v4
	v_cvt_u32_f32_e32 v9, v4
	v_cvt_u32_f32_e32 v1, v1
	v_mul_lo_u32 v4, s2, v9
	v_mul_hi_u32 v12, s2, v1
	v_mul_lo_u32 v5, s3, v1
	v_add_u32_e32 v12, v12, v4
	v_mul_lo_u32 v14, s2, v1
	v_add_u32_e32 v15, v12, v5
	v_mul_hi_u32 v4, v1, v14
	v_mul_hi_u32 v13, v1, v15
	v_mul_lo_u32 v12, v1, v15
	v_mov_b32_e32 v5, v8
	v_lshl_add_u64 v[4:5], v[4:5], 0, v[12:13]
	v_mul_hi_u32 v13, v9, v14
	v_mul_lo_u32 v14, v9, v14
	v_add_co_u32_e32 v4, vcc, v4, v14
	v_mul_hi_u32 v12, v9, v15
	s_nop 0
	v_addc_co_u32_e32 v4, vcc, v5, v13, vcc
	v_mov_b32_e32 v5, v8
	s_nop 0
	v_addc_co_u32_e32 v13, vcc, 0, v12, vcc
	v_mul_lo_u32 v12, v9, v15
	v_lshl_add_u64 v[4:5], v[4:5], 0, v[12:13]
	v_add_co_u32_e32 v1, vcc, v1, v4
	v_mul_lo_u32 v12, s2, v1
	s_nop 0
	v_addc_co_u32_e32 v9, vcc, v9, v5, vcc
	v_mul_lo_u32 v4, s2, v9
	v_mul_hi_u32 v5, s2, v1
	v_add_u32_e32 v4, v5, v4
	v_mul_lo_u32 v5, s3, v1
	v_add_u32_e32 v14, v4, v5
	v_mul_hi_u32 v16, v9, v12
	v_mul_lo_u32 v17, v9, v12
	v_mul_hi_u32 v5, v1, v14
	v_mul_lo_u32 v4, v1, v14
	v_mul_hi_u32 v12, v1, v12
	v_mov_b32_e32 v13, v8
	v_lshl_add_u64 v[4:5], v[12:13], 0, v[4:5]
	v_add_co_u32_e32 v4, vcc, v4, v17
	v_mul_hi_u32 v15, v9, v14
	s_nop 0
	v_addc_co_u32_e32 v4, vcc, v5, v16, vcc
	v_mul_lo_u32 v12, v9, v14
	s_nop 0
	v_addc_co_u32_e32 v13, vcc, 0, v15, vcc
	v_mov_b32_e32 v5, v8
	v_lshl_add_u64 v[4:5], v[4:5], 0, v[12:13]
	v_add_co_u32_e32 v1, vcc, v1, v4
	v_mul_hi_u32 v12, v10, v1
	s_nop 0
	v_addc_co_u32_e32 v9, vcc, v9, v5, vcc
	v_mad_u64_u32 v[4:5], s[2:3], v10, v9, 0
	v_mov_b32_e32 v13, v8
	v_lshl_add_u64 v[4:5], v[12:13], 0, v[4:5]
	v_mad_u64_u32 v[14:15], s[2:3], v11, v1, 0
	v_add_co_u32_e32 v1, vcc, v4, v14
	v_mad_u64_u32 v[12:13], s[2:3], v11, v9, 0
	s_nop 0
	v_addc_co_u32_e32 v4, vcc, v5, v15, vcc
	v_mov_b32_e32 v5, v8
	s_nop 0
	v_addc_co_u32_e32 v13, vcc, 0, v13, vcc
	v_lshl_add_u64 v[4:5], v[4:5], 0, v[12:13]
	v_mul_lo_u32 v1, s29, v4
	v_mul_lo_u32 v9, s28, v5
	v_mad_u64_u32 v[12:13], s[2:3], s28, v4, 0
	v_add3_u32 v1, v13, v9, v1
	v_sub_u32_e32 v9, v11, v1
	v_mov_b32_e32 v13, s29
	v_sub_co_u32_e32 v16, vcc, v10, v12
	v_lshl_add_u64 v[14:15], v[4:5], 0, 1
	s_nop 0
	v_subb_co_u32_e64 v9, s[2:3], v9, v13, vcc
	v_subrev_co_u32_e64 v12, s[2:3], s28, v16
	v_subb_co_u32_e32 v1, vcc, v11, v1, vcc
	s_nop 0
	v_subbrev_co_u32_e64 v9, s[2:3], 0, v9, s[2:3]
	v_cmp_le_u32_e64 s[2:3], s29, v9
	v_cmp_le_u32_e32 vcc, s29, v1
	s_nop 0
	v_cndmask_b32_e64 v13, 0, -1, s[2:3]
	v_cmp_le_u32_e64 s[2:3], s28, v12
	s_nop 1
	v_cndmask_b32_e64 v12, 0, -1, s[2:3]
	v_cmp_eq_u32_e64 s[2:3], s29, v9
	s_nop 1
	v_cndmask_b32_e64 v9, v13, v12, s[2:3]
	v_lshl_add_u64 v[12:13], v[4:5], 0, 2
	v_cmp_ne_u32_e64 s[2:3], 0, v9
	s_nop 1
	v_cndmask_b32_e64 v9, v15, v13, s[2:3]
	v_cndmask_b32_e64 v13, 0, -1, vcc
	v_cmp_le_u32_e32 vcc, s28, v16
	s_nop 1
	v_cndmask_b32_e64 v15, 0, -1, vcc
	v_cmp_eq_u32_e32 vcc, s29, v1
	s_nop 1
	v_cndmask_b32_e32 v1, v13, v15, vcc
	v_cmp_ne_u32_e32 vcc, 0, v1
	v_cndmask_b32_e64 v1, v14, v12, s[2:3]
	s_nop 0
	v_cndmask_b32_e32 v5, v5, v9, vcc
	v_cndmask_b32_e32 v4, v4, v1, vcc
.LBB0_4:                                ;   in Loop: Header=BB0_2 Depth=1
	s_andn2_saveexec_b64 s[2:3], s[30:31]
	s_cbranch_execz .LBB0_6
; %bb.5:                                ;   in Loop: Header=BB0_2 Depth=1
	v_cvt_f32_u32_e32 v1, s28
	s_sub_i32 s30, 0, s28
	v_rcp_iflag_f32_e32 v1, v1
	s_nop 0
	v_mul_f32_e32 v1, 0x4f7ffffe, v1
	v_cvt_u32_f32_e32 v1, v1
	v_mul_lo_u32 v4, s30, v1
	v_mul_hi_u32 v4, v1, v4
	v_add_u32_e32 v1, v1, v4
	v_mul_hi_u32 v1, v10, v1
	v_mul_lo_u32 v4, v1, s28
	v_sub_u32_e32 v4, v10, v4
	v_add_u32_e32 v5, 1, v1
	v_subrev_u32_e32 v9, s28, v4
	v_cmp_le_u32_e32 vcc, s28, v4
	s_nop 1
	v_cndmask_b32_e32 v4, v4, v9, vcc
	v_cndmask_b32_e32 v1, v1, v5, vcc
	v_add_u32_e32 v5, 1, v1
	v_cmp_le_u32_e32 vcc, s28, v4
	s_nop 1
	v_cndmask_b32_e32 v4, v1, v5, vcc
	v_mov_b32_e32 v5, v8
.LBB0_6:                                ;   in Loop: Header=BB0_2 Depth=1
	s_or_b64 exec, exec, s[2:3]
	v_mad_u64_u32 v[12:13], s[2:3], v4, s28, 0
	s_load_dwordx2 s[2:3], s[22:23], 0x0
	v_mul_lo_u32 v1, v5, s28
	v_mul_lo_u32 v9, v4, s29
	s_load_dwordx2 s[28:29], s[20:21], 0x0
	s_add_u32 s26, s26, 1
	v_add3_u32 v1, v13, v9, v1
	v_sub_co_u32_e32 v9, vcc, v10, v12
	s_addc_u32 s27, s27, 0
	s_nop 0
	v_subb_co_u32_e32 v1, vcc, v11, v1, vcc
	s_add_u32 s20, s20, 8
	s_waitcnt lgkmcnt(0)
	v_mul_lo_u32 v10, s2, v1
	v_mul_lo_u32 v11, s3, v9
	v_mad_u64_u32 v[6:7], s[2:3], s2, v9, v[6:7]
	s_addc_u32 s21, s21, 0
	v_add3_u32 v7, v11, v7, v10
	v_mul_lo_u32 v1, s28, v1
	v_mul_lo_u32 v10, s29, v9
	v_mad_u64_u32 v[2:3], s[2:3], s28, v9, v[2:3]
	s_add_u32 s22, s22, 8
	v_add3_u32 v3, v10, v3, v1
	s_addc_u32 s23, s23, 0
	v_mov_b64_e32 v[10:11], s[10:11]
	s_add_u32 s24, s24, 8
	v_cmp_ge_u64_e32 vcc, s[26:27], v[10:11]
	s_addc_u32 s25, s25, 0
	s_cbranch_vccnz .LBB0_9
; %bb.7:                                ;   in Loop: Header=BB0_2 Depth=1
	v_mov_b64_e32 v[10:11], v[4:5]
	s_branch .LBB0_2
.LBB0_8:
	v_mov_b64_e32 v[2:3], v[6:7]
	v_mov_b64_e32 v[4:5], v[10:11]
.LBB0_9:
	s_load_dwordx2 s[0:1], s[0:1], 0x28
	s_lshl_b64 s[20:21], s[10:11], 3
	s_mov_b32 s10, 0x2e8ba2f
	v_mul_hi_u32 v1, v0, s10
	v_mul_u32_u24_e32 v1, 0x58, v1
	v_sub_u32_e32 v12, v0, v1
	s_add_u32 s2, s14, s20
	s_waitcnt lgkmcnt(0)
	v_cmp_gt_u64_e32 vcc, s[0:1], v[4:5]
	v_cmp_gt_u32_e64 s[0:1], 56, v12
	s_addc_u32 s3, s15, s21
	s_and_b64 s[14:15], vcc, s[0:1]
	v_mov_b32_e32 v0, 0
                                        ; implicit-def: $vgpr8
                                        ; implicit-def: $vgpr9
                                        ; implicit-def: $vgpr10
                                        ; implicit-def: $vgpr11
                                        ; implicit-def: $vgpr14
                                        ; implicit-def: $vgpr15
                                        ; implicit-def: $vgpr16
                                        ; implicit-def: $vgpr17
                                        ; implicit-def: $vgpr18
                                        ; implicit-def: $vgpr19
	s_and_saveexec_b64 s[10:11], s[14:15]
	s_cbranch_execz .LBB0_11
; %bb.10:
	s_add_u32 s12, s12, s20
	s_addc_u32 s13, s13, s21
	s_load_dwordx2 s[12:13], s[12:13], 0x0
	s_waitcnt lgkmcnt(0)
	v_mul_lo_u32 v8, s13, v4
	v_mul_lo_u32 v9, s12, v5
	v_mad_u64_u32 v[0:1], s[12:13], s12, v4, 0
	v_add3_u32 v1, v1, v9, v8
	v_mad_u64_u32 v[8:9], s[12:13], s18, v12, 0
	v_mov_b32_e32 v10, v9
	v_mad_u64_u32 v[10:11], s[12:13], s19, v12, v[10:11]
	v_lshl_add_u64 v[0:1], v[0:1], 2, s[4:5]
	v_mov_b32_e32 v9, v10
	v_lshl_add_u64 v[0:1], v[6:7], 2, v[0:1]
	v_add_u32_e32 v11, 56, v12
	v_lshl_add_u64 v[6:7], v[8:9], 2, v[0:1]
	v_mad_u64_u32 v[8:9], s[4:5], s18, v11, 0
	v_mov_b32_e32 v10, v9
	v_mad_u64_u32 v[10:11], s[4:5], s19, v11, v[10:11]
	v_mov_b32_e32 v9, v10
	v_add_u32_e32 v11, 0x70, v12
	v_lshl_add_u64 v[20:21], v[8:9], 2, v[0:1]
	v_mad_u64_u32 v[8:9], s[4:5], s18, v11, 0
	v_mov_b32_e32 v10, v9
	v_mad_u64_u32 v[10:11], s[4:5], s19, v11, v[10:11]
	v_mov_b32_e32 v9, v10
	;; [unrolled: 6-line block ×7, first 2 shown]
	v_or_b32_e32 v11, 0x1c0, v12
	v_lshl_add_u64 v[32:33], v[8:9], 2, v[0:1]
	v_mad_u64_u32 v[8:9], s[4:5], s18, v11, 0
	v_mov_b32_e32 v10, v9
	v_mad_u64_u32 v[10:11], s[4:5], s19, v11, v[10:11]
	v_mov_b32_e32 v9, v10
	v_add_u32_e32 v11, 0x1f8, v12
	v_lshl_add_u64 v[34:35], v[8:9], 2, v[0:1]
	v_mad_u64_u32 v[8:9], s[4:5], s18, v11, 0
	v_mov_b32_e32 v10, v9
	v_mad_u64_u32 v[10:11], s[4:5], s19, v11, v[10:11]
	v_mov_b32_e32 v9, v10
	v_add_u32_e32 v11, 0x230, v12
	v_lshl_add_u64 v[36:37], v[8:9], 2, v[0:1]
	v_mad_u64_u32 v[8:9], s[4:5], s18, v11, 0
	v_mov_b32_e32 v10, v9
	v_mad_u64_u32 v[10:11], s[4:5], s19, v11, v[10:11]
	v_mov_b32_e32 v9, v10
	v_lshl_add_u64 v[38:39], v[8:9], 2, v[0:1]
	global_load_dword v0, v[6:7], off
	global_load_dword v14, v[20:21], off
	;; [unrolled: 1-line block ×11, first 2 shown]
.LBB0_11:
	s_or_b64 exec, exec, s[10:11]
	s_waitcnt vmcnt(0)
	v_pk_add_f16 v6, v14, v15
	v_pk_add_f16 v28, v14, v15 neg_lo:[0,1] neg_hi:[0,1]
	s_mov_b32 s10, 0xb93d
	s_mov_b32 s15, 0xba0c
	v_lshrrev_b32_e32 v23, 16, v6
	v_mul_f16_e32 v35, 0xba0c, v28
	v_mul_f16_sdwa v33, v28, s15 dst_sel:DWORD dst_unused:UNUSED_PAD src0_sel:WORD_1 src1_sel:DWORD
	v_fma_f16 v7, v23, s10, v35
	v_pk_add_f16 v29, v16, v17 neg_lo:[0,1] neg_hi:[0,1]
	s_movk_i32 s20, 0x3beb
	v_fma_f16 v1, v6, s10, -v33
	v_add_f16_sdwa v13, v0, v7 dst_sel:DWORD dst_unused:UNUSED_PAD src0_sel:WORD_1 src1_sel:DWORD
	v_pk_add_f16 v7, v16, v17
	s_mov_b32 s11, 0xb08e
	v_mul_f16_sdwa v34, v29, s20 dst_sel:DWORD dst_unused:UNUSED_PAD src0_sel:WORD_1 src1_sel:DWORD
	v_add_f16_e32 v1, v0, v1
	v_lshrrev_b32_e32 v24, 16, v7
	v_mul_f16_e32 v37, 0x3beb, v29
	v_fma_f16 v20, v7, s11, -v34
	v_add_f16_e32 v1, v1, v20
	v_fma_f16 v20, v24, s11, v37
	v_pk_add_f16 v30, v18, v19 neg_lo:[0,1] neg_hi:[0,1]
	s_mov_b32 s19, 0xb853
	v_add_f16_e32 v13, v13, v20
	v_pk_add_f16 v20, v18, v19
	s_movk_i32 s12, 0x3abb
	v_mul_f16_sdwa v36, v30, s19 dst_sel:DWORD dst_unused:UNUSED_PAD src0_sel:WORD_1 src1_sel:DWORD
	v_lshrrev_b32_e32 v25, 16, v20
	v_mul_f16_e32 v39, 0xb853, v30
	v_fma_f16 v21, v20, s12, -v36
	v_add_f16_e32 v1, v1, v21
	v_fma_f16 v21, v25, s12, v39
	v_pk_add_f16 v31, v10, v11 neg_lo:[0,1] neg_hi:[0,1]
	s_mov_b32 s18, 0xb482
	v_add_f16_e32 v13, v13, v21
	v_pk_add_f16 v21, v10, v11
	s_mov_b32 s13, 0xbbad
	v_mul_f16_sdwa v38, v31, s18 dst_sel:DWORD dst_unused:UNUSED_PAD src0_sel:WORD_1 src1_sel:DWORD
	v_lshrrev_b32_e32 v26, 16, v21
	v_mul_f16_e32 v41, 0xb482, v31
	v_fma_f16 v22, v21, s13, -v38
	v_add_f16_e32 v1, v22, v1
	v_fma_f16 v22, v26, s13, v41
	v_pk_add_f16 v32, v8, v9 neg_lo:[0,1] neg_hi:[0,1]
	s_movk_i32 s21, 0x3b47
	v_add_f16_e32 v13, v22, v13
	v_pk_add_f16 v22, v8, v9
	s_movk_i32 s14, 0x36a6
	v_mul_f16_sdwa v40, v32, s21 dst_sel:DWORD dst_unused:UNUSED_PAD src0_sel:WORD_1 src1_sel:DWORD
	v_lshrrev_b32_e32 v27, 16, v22
	v_mul_f16_e32 v42, 0x3b47, v32
	v_fma_f16 v43, v22, s14, -v40
	v_add_f16_e32 v1, v43, v1
	v_fma_f16 v43, v27, s14, v42
	v_add_f16_e32 v13, v43, v13
	s_and_saveexec_b64 s[4:5], s[0:1]
	s_cbranch_execz .LBB0_13
; %bb.12:
	v_mul_f16_e32 v43, 0xb93d, v6
	v_mul_f16_e32 v44, 0xb93d, v23
	;; [unrolled: 1-line block ×3, first 2 shown]
	v_add_f16_e32 v33, v33, v43
	v_mul_f16_e32 v46, 0xb08e, v24
	v_mul_f16_e32 v47, 0x3abb, v20
	v_sub_f16_e32 v35, v44, v35
	v_add_f16_e32 v33, v0, v33
	v_add_f16_e32 v34, v34, v45
	v_mul_f16_e32 v48, 0x3abb, v25
	v_mul_f16_e32 v49, 0xbbad, v21
	v_add_f16_sdwa v35, v0, v35 dst_sel:DWORD dst_unused:UNUSED_PAD src0_sel:WORD_1 src1_sel:DWORD
	v_sub_f16_e32 v37, v46, v37
	v_add_f16_e32 v33, v33, v34
	v_add_f16_e32 v34, v36, v47
	v_mul_f16_e32 v50, 0xbbad, v26
	v_mul_f16_e32 v51, 0x36a6, v22
	v_add_f16_e32 v35, v35, v37
	v_sub_f16_e32 v37, v48, v39
	v_add_f16_e32 v33, v33, v34
	v_add_f16_e32 v34, v38, v49
	v_mul_f16_e32 v52, 0x36a6, v27
	v_add_f16_e32 v35, v35, v37
	v_sub_f16_e32 v37, v50, v41
	v_add_f16_e32 v33, v34, v33
	v_add_f16_e32 v34, v40, v51
	;; [unrolled: 1-line block ×3, first 2 shown]
	v_sub_f16_e32 v37, v52, v42
	v_add_f16_e32 v33, v34, v33
	v_mul_f16_e32 v34, 0xbbeb, v28
	v_add_f16_e32 v35, v37, v35
	v_fma_f16 v36, v23, s11, -v34
	v_mul_f16_e32 v37, 0x3482, v29
	v_add_f16_sdwa v36, v0, v36 dst_sel:DWORD dst_unused:UNUSED_PAD src0_sel:WORD_1 src1_sel:DWORD
	v_fma_f16 v38, v24, s13, -v37
	v_add_f16_e32 v36, v36, v38
	v_mul_f16_e32 v38, 0x3b47, v30
	v_fma_f16 v39, v25, s14, -v38
	v_add_f16_e32 v36, v36, v39
	v_mul_f16_e32 v39, 0xb853, v31
	;; [unrolled: 3-line block ×3, first 2 shown]
	s_mov_b32 s1, 0xbbeb
	v_fma_f16 v41, v27, s10, -v40
	s_movk_i32 s22, 0x3482
	v_add_f16_e32 v36, v41, v36
	v_mul_f16_sdwa v41, v28, s1 dst_sel:DWORD dst_unused:UNUSED_PAD src0_sel:WORD_1 src1_sel:DWORD
	v_fma_f16 v42, v6, s11, v41
	v_mul_f16_sdwa v43, v29, s22 dst_sel:DWORD dst_unused:UNUSED_PAD src0_sel:WORD_1 src1_sel:DWORD
	v_add_f16_e32 v42, v0, v42
	v_fma_f16 v44, v7, s13, v43
	v_add_f16_e32 v42, v42, v44
	v_mul_f16_sdwa v44, v30, s21 dst_sel:DWORD dst_unused:UNUSED_PAD src0_sel:WORD_1 src1_sel:DWORD
	v_fma_f16 v45, v20, s14, v44
	v_add_f16_e32 v42, v42, v45
	v_mul_f16_sdwa v45, v31, s19 dst_sel:DWORD dst_unused:UNUSED_PAD src0_sel:WORD_1 src1_sel:DWORD
	v_fma_f16 v46, v21, s12, v45
	v_add_f16_e32 v42, v46, v42
	v_mul_f16_sdwa v46, v32, s15 dst_sel:DWORD dst_unused:UNUSED_PAD src0_sel:WORD_1 src1_sel:DWORD
	v_pk_mul_f16 v53, v28, s18 op_sel_hi:[1,0]
	s_movk_i32 s0, 0x3853
	v_fma_f16 v47, v22, s10, v46
	v_pk_fma_f16 v54, v6, s13, v53 op_sel:[0,0,1] op_sel_hi:[1,0,0]
	v_pk_mul_f16 v55, v29, s0 op_sel_hi:[1,0]
	v_add_f16_e32 v42, v47, v42
	v_mul_f16_e32 v47, 0xbb47, v28
	v_pk_add_f16 v54, v0, v54
	v_pk_fma_f16 v56, v7, s12, v55 op_sel:[0,0,1] op_sel_hi:[1,0,0]
	v_fma_f16 v48, v23, s14, -v47
	v_mul_f16_e32 v49, 0xba0c, v29
	v_pk_add_f16 v54, v54, v56
	v_pk_mul_f16 v56, v30, s15 op_sel_hi:[1,0]
	v_add_f16_sdwa v48, v0, v48 dst_sel:DWORD dst_unused:UNUSED_PAD src0_sel:WORD_1 src1_sel:DWORD
	v_fma_f16 v50, v24, s10, -v49
	v_pk_fma_f16 v57, v20, s10, v56 op_sel:[0,0,1] op_sel_hi:[1,0,0]
	v_add_f16_e32 v48, v48, v50
	v_mul_f16_e32 v50, 0x3482, v30
	v_pk_add_f16 v54, v54, v57
	v_pk_mul_f16 v57, v31, s21 op_sel_hi:[1,0]
	v_fma_f16 v51, v25, s13, -v50
	v_pk_fma_f16 v58, v21, s14, v57 op_sel:[0,0,1] op_sel_hi:[1,0,0]
	v_add_f16_e32 v48, v48, v51
	v_mul_f16_e32 v51, 0x3beb, v31
	v_pk_add_f16 v54, v58, v54
	v_pk_mul_f16 v58, v32, s1 op_sel_hi:[1,0]
	v_fma_f16 v52, v26, s11, -v51
	v_pk_fma_f16 v59, v22, s11, v58 op_sel:[0,0,1] op_sel_hi:[1,0,0]
	v_add_f16_e32 v48, v52, v48
	v_mul_f16_e32 v52, 0x3853, v32
	v_pk_add_f16 v54, v59, v54
	s_mov_b32 s21, 0xbb47
	v_fma_f16 v59, v27, s12, -v52
	v_add_f16_e32 v48, v59, v48
	v_mul_f16_sdwa v59, v28, s21 dst_sel:DWORD dst_unused:UNUSED_PAD src0_sel:WORD_1 src1_sel:DWORD
	v_fma_f16 v60, v6, s14, v59
	v_mul_f16_sdwa v61, v29, s15 dst_sel:DWORD dst_unused:UNUSED_PAD src0_sel:WORD_1 src1_sel:DWORD
	v_add_f16_e32 v60, v0, v60
	v_fma_f16 v62, v7, s10, v61
	v_add_f16_e32 v60, v60, v62
	v_mul_f16_sdwa v62, v30, s22 dst_sel:DWORD dst_unused:UNUSED_PAD src0_sel:WORD_1 src1_sel:DWORD
	v_fma_f16 v34, v23, s11, v34
	v_fma_f16 v63, v20, s13, v62
	v_add_f16_sdwa v34, v0, v34 dst_sel:DWORD dst_unused:UNUSED_PAD src0_sel:WORD_1 src1_sel:DWORD
	v_fma_f16 v37, v24, s13, v37
	v_add_f16_e32 v60, v60, v63
	v_mul_f16_sdwa v63, v31, s20 dst_sel:DWORD dst_unused:UNUSED_PAD src0_sel:WORD_1 src1_sel:DWORD
	v_add_f16_e32 v34, v34, v37
	v_fma_f16 v37, v25, s14, v38
	v_fma_f16 v64, v21, s11, v63
	v_add_f16_e32 v34, v34, v37
	v_fma_f16 v37, v26, s12, v39
	v_add_f16_e32 v60, v64, v60
	v_mul_f16_sdwa v64, v32, s0 dst_sel:DWORD dst_unused:UNUSED_PAD src0_sel:WORD_1 src1_sel:DWORD
	v_add_f16_e32 v34, v37, v34
	v_fma_f16 v37, v27, s10, v40
	v_fma_f16 v65, v22, s12, v64
	v_add_f16_e32 v34, v37, v34
	v_fma_f16 v37, v6, s11, -v41
	v_add_f16_e32 v60, v65, v60
	v_mul_f16_e32 v65, 0xb853, v28
	v_add_f16_e32 v37, v0, v37
	v_fma_f16 v38, v7, s13, -v43
	v_fma_f16 v66, v23, s12, -v65
	v_mul_f16_e32 v67, 0xbb47, v29
	v_add_f16_e32 v37, v37, v38
	v_fma_f16 v38, v20, s14, -v44
	v_add_f16_sdwa v66, v0, v66 dst_sel:DWORD dst_unused:UNUSED_PAD src0_sel:WORD_1 src1_sel:DWORD
	v_fma_f16 v68, v24, s14, -v67
	v_add_f16_e32 v37, v37, v38
	v_fma_f16 v38, v21, s12, -v45
	v_add_f16_e32 v66, v66, v68
	v_mul_f16_e32 v68, 0xbbeb, v30
	v_add_f16_e32 v37, v38, v37
	v_fma_f16 v38, v22, s10, -v46
	v_fma_f16 v69, v25, s11, -v68
	v_add_f16_e32 v37, v38, v37
	v_fma_f16 v38, v23, s14, v47
	v_fma_f16 v23, v23, s12, v65
	v_add_f16_e32 v66, v66, v69
	v_mul_f16_e32 v69, 0xba0c, v31
	v_add_f16_sdwa v38, v0, v38 dst_sel:DWORD dst_unused:UNUSED_PAD src0_sel:WORD_1 src1_sel:DWORD
	v_fma_f16 v39, v24, s10, v49
	v_add_f16_sdwa v23, v0, v23 dst_sel:DWORD dst_unused:UNUSED_PAD src0_sel:WORD_1 src1_sel:DWORD
	v_fma_f16 v24, v24, s14, v67
	v_fma_f16 v70, v26, s10, -v69
	v_add_f16_e32 v38, v38, v39
	v_fma_f16 v39, v25, s13, v50
	v_add_f16_e32 v23, v23, v24
	v_fma_f16 v24, v25, s11, v68
	v_pk_add_f16 v14, v0, v14
	v_add_f16_e32 v66, v70, v66
	v_mul_f16_e32 v70, 0xb482, v32
	v_add_f16_e32 v38, v38, v39
	v_fma_f16 v39, v26, s11, v51
	v_add_f16_e32 v23, v23, v24
	v_fma_f16 v24, v26, s10, v69
	v_pk_add_f16 v14, v14, v16
	v_fma_f16 v71, v27, s13, -v70
	v_mul_f16_sdwa v28, v28, s19 dst_sel:DWORD dst_unused:UNUSED_PAD src0_sel:WORD_1 src1_sel:DWORD
	v_add_f16_e32 v38, v39, v38
	v_fma_f16 v39, v27, s12, v52
	v_add_f16_e32 v23, v24, v23
	v_fma_f16 v24, v27, s13, v70
	v_pk_add_f16 v14, v14, v18
	v_add_f16_e32 v66, v71, v66
	v_fma_f16 v71, v6, s12, v28
	v_add_f16_e32 v38, v39, v38
	v_fma_f16 v39, v6, s14, -v59
	v_add_f16_e32 v23, v24, v23
	v_fma_f16 v24, v6, s12, -v28
	v_pk_add_f16 v10, v14, v10
	v_pk_fma_f16 v6, v6, s13, v53 op_sel:[0,0,1] op_sel_hi:[1,0,0] neg_lo:[0,0,1] neg_hi:[0,0,1]
	v_add_f16_e32 v71, v0, v71
	v_mul_f16_sdwa v29, v29, s21 dst_sel:DWORD dst_unused:UNUSED_PAD src0_sel:WORD_1 src1_sel:DWORD
	v_add_f16_e32 v39, v0, v39
	v_add_f16_e32 v24, v0, v24
	v_pk_add_f16 v8, v10, v8
	v_pk_add_f16 v0, v0, v6
	v_pk_fma_f16 v6, v7, s12, v55 op_sel:[0,0,1] op_sel_hi:[1,0,0] neg_lo:[0,0,1] neg_hi:[0,0,1]
	v_fma_f16 v72, v7, s14, v29
	v_mul_f16_sdwa v30, v30, s1 dst_sel:DWORD dst_unused:UNUSED_PAD src0_sel:WORD_1 src1_sel:DWORD
	v_pk_add_f16 v8, v8, v9
	v_pk_add_f16 v0, v0, v6
	v_pk_fma_f16 v6, v20, s10, v56 op_sel:[0,0,1] op_sel_hi:[1,0,0] neg_lo:[0,0,1] neg_hi:[0,0,1]
	v_add_f16_e32 v71, v71, v72
	v_fma_f16 v72, v20, s11, v30
	v_mul_f16_sdwa v31, v31, s15 dst_sel:DWORD dst_unused:UNUSED_PAD src0_sel:WORD_1 src1_sel:DWORD
	v_fma_f16 v40, v7, s10, -v61
	v_fma_f16 v25, v7, s14, -v29
	v_pk_add_f16 v8, v8, v11
	v_pk_add_f16 v0, v0, v6
	v_pk_fma_f16 v6, v21, s14, v57 op_sel:[0,0,1] op_sel_hi:[1,0,0] neg_lo:[0,0,1] neg_hi:[0,0,1]
	v_add_f16_e32 v71, v71, v72
	v_fma_f16 v72, v21, s10, v31
	v_mul_f16_sdwa v32, v32, s18 dst_sel:DWORD dst_unused:UNUSED_PAD src0_sel:WORD_1 src1_sel:DWORD
	v_add_f16_e32 v39, v39, v40
	v_fma_f16 v40, v20, s13, -v62
	v_add_f16_e32 v24, v24, v25
	v_fma_f16 v25, v20, s11, -v30
	v_pk_add_f16 v8, v8, v19
	v_pk_add_f16 v0, v6, v0
	v_pk_fma_f16 v6, v22, s11, v58 op_sel:[0,0,1] op_sel_hi:[1,0,0] neg_lo:[0,0,1] neg_hi:[0,0,1]
	v_add_f16_e32 v71, v72, v71
	v_fma_f16 v72, v22, s13, v32
	v_add_f16_e32 v39, v39, v40
	v_fma_f16 v40, v21, s11, -v63
	v_add_f16_e32 v24, v24, v25
	v_fma_f16 v25, v21, s10, -v31
	v_pk_add_f16 v8, v17, v8
	v_pk_add_f16 v0, v6, v0
	s_mov_b32 s0, 0xffff
	v_add_f16_e32 v71, v72, v71
	v_add_f16_e32 v39, v40, v39
	v_fma_f16 v40, v22, s12, -v64
	v_add_f16_e32 v24, v25, v24
	v_fma_f16 v25, v22, s13, -v32
	v_pk_add_f16 v8, v15, v8
	v_mad_u32_u24 v9, v12, 44, 0
	v_bfi_b32 v6, s0, v0, v54
	v_bfi_b32 v0, s0, v54, v0
	s_mov_b32 s0, 0x5040100
	v_add_f16_e32 v39, v40, v39
	v_add_f16_e32 v24, v25, v24
	ds_write_b32 v9, v8
	v_pack_b32_f16 v8, v60, v48
	v_pack_b32_f16 v10, v71, v66
	ds_write2_b32 v9, v0, v6 offset0:5 offset1:6
	v_pack_b32_f16 v0, v37, v34
	v_perm_b32 v6, v13, v1, s0
	ds_write2_b32 v9, v10, v8 offset0:1 offset1:2
	v_pack_b32_f16 v8, v33, v35
	v_pack_b32_f16 v10, v42, v36
	ds_write2_b32 v9, v6, v0 offset0:7 offset1:8
	v_pack_b32_f16 v0, v24, v23
	v_pack_b32_f16 v6, v39, v38
	ds_write2_b32 v9, v10, v8 offset0:3 offset1:4
	ds_write2_b32 v9, v6, v0 offset0:9 offset1:10
.LBB0_13:
	s_or_b64 exec, exec, s[4:5]
	s_movk_i32 s0, 0x75
	v_mul_lo_u16_sdwa v0, v12, s0 dst_sel:DWORD dst_unused:UNUSED_PAD src0_sel:BYTE_0 src1_sel:DWORD
	v_sub_u16_sdwa v6, v12, v0 dst_sel:DWORD dst_unused:UNUSED_PAD src0_sel:DWORD src1_sel:BYTE_1
	v_lshrrev_b16_e32 v6, 1, v6
	v_and_b32_e32 v6, 0x7f, v6
	v_add_u16_sdwa v0, v6, v0 dst_sel:DWORD dst_unused:UNUSED_PAD src0_sel:DWORD src1_sel:BYTE_1
	v_lshrrev_b16_e32 v0, 3, v0
	v_mul_lo_u16_e32 v6, 11, v0
	v_sub_u16_e32 v15, v12, v6
	v_mov_b32_e32 v6, 6
	v_mul_u32_u24_sdwa v6, v15, v6 dst_sel:DWORD dst_unused:UNUSED_PAD src0_sel:BYTE_0 src1_sel:DWORD
	v_lshlrev_b32_e32 v14, 2, v6
	s_load_dwordx2 s[2:3], s[2:3], 0x0
	s_waitcnt lgkmcnt(0)
	s_barrier
	global_load_dwordx4 v[6:9], v14, s[8:9]
	global_load_dwordx2 v[10:11], v14, s[8:9] offset:16
	v_lshl_add_u32 v14, v12, 2, 0
	v_add_u32_e32 v18, 0x200, v14
	v_add_u32_e32 v21, 0x400, v14
	ds_read2_b32 v[16:17], v14 offset1:88
	ds_read_b32 v24, v14 offset:2112
	ds_read2_b32 v[18:19], v18 offset0:48 offset1:136
	ds_read2_b32 v[22:23], v21 offset0:96 offset1:184
	v_mov_b32_e32 v20, 2
	s_mov_b32 s0, 0x5040100
	s_mov_b32 s1, 0x7060302
	v_mul_u32_u24_e32 v0, 0x134, v0
	v_lshlrev_b32_sdwa v15, v20, v15 dst_sel:DWORD dst_unused:UNUSED_PAD src0_sel:DWORD src1_sel:BYTE_0
	s_waitcnt lgkmcnt(2)
	v_perm_b32 v25, v24, v17, s0
	s_waitcnt lgkmcnt(1)
	v_perm_b32 v27, v18, v19, s0
	;; [unrolled: 2-line block ×3, first 2 shown]
	v_add3_u32 v15, 0, v0, v15
	v_perm_b32 v26, v24, v17, s1
	v_perm_b32 v28, v18, v19, s1
	v_perm_b32 v30, v23, v22, s1
	s_mov_b32 s4, 0xffff
	s_mov_b32 s5, 0x2b263a52
	;; [unrolled: 1-line block ×3, first 2 shown]
	s_barrier
	s_waitcnt vmcnt(1)
	v_mul_f16_sdwa v0, v6, v17 dst_sel:DWORD dst_unused:UNUSED_PAD src0_sel:WORD_1 src1_sel:WORD_1
	s_waitcnt vmcnt(0)
	v_mul_f16_sdwa v20, v11, v24 dst_sel:DWORD dst_unused:UNUSED_PAD src0_sel:WORD_1 src1_sel:WORD_1
	v_perm_b32 v32, v11, v6, s1
	v_mul_f16_sdwa v33, v7, v18 dst_sel:DWORD dst_unused:UNUSED_PAD src0_sel:WORD_1 src1_sel:WORD_1
	v_perm_b32 v36, v7, v8, s1
	v_perm_b32 v40, v10, v9, s1
	;; [unrolled: 1-line block ×4, first 2 shown]
	v_mul_f16_sdwa v38, v10, v23 dst_sel:DWORD dst_unused:UNUSED_PAD src0_sel:WORD_1 src1_sel:WORD_1
	v_perm_b32 v39, v10, v9, s0
	v_fma_f16 v0, v6, v17, v0
	v_fma_f16 v6, v11, v24, v20
	v_pk_mul_f16 v11, v32, v25
	v_fma_f16 v7, v7, v18, v33
	v_pk_mul_f16 v17, v36, v27
	v_pk_mul_f16 v18, v40, v29
	v_mul_f16_sdwa v34, v8, v19 dst_sel:DWORD dst_unused:UNUSED_PAD src0_sel:WORD_1 src1_sel:WORD_1
	v_mul_f16_sdwa v37, v9, v22 dst_sel:DWORD dst_unused:UNUSED_PAD src0_sel:WORD_1 src1_sel:WORD_1
	v_fma_f16 v10, v10, v23, v38
	v_pk_fma_f16 v11, v31, v26, v11 neg_lo:[0,0,1] neg_hi:[0,0,1]
	v_pk_fma_f16 v17, v35, v28, v17 neg_lo:[0,0,1] neg_hi:[0,0,1]
	;; [unrolled: 1-line block ×3, first 2 shown]
	v_fma_f16 v8, v8, v19, v34
	v_fma_f16 v9, v9, v22, v37
	v_add_f16_e32 v19, v7, v10
	v_pk_add_f16 v22, v17, v18
	v_pack_b32_f16 v24, v0, v11
	v_bfi_b32 v25, s4, v6, v11
	v_add_f16_e32 v20, v8, v9
	v_pack_b32_f16 v0, v11, v0
	v_alignbit_b32 v6, v6, v11, 16
	v_alignbit_b32 v7, v7, v17, 16
	;; [unrolled: 1-line block ×3, first 2 shown]
	v_pack_b32_f16 v9, v18, v9
	v_pk_add_f16 v11, v24, v25
	v_bfi_b32 v18, s4, v19, v22
	v_sub_f16_e32 v23, v20, v19
	v_pack_b32_f16 v8, v17, v8
	v_pack_b32_f16 v19, v20, v22
	v_pk_add_f16 v0, v0, v6 neg_lo:[0,1] neg_hi:[0,1]
	v_pk_add_f16 v7, v7, v10 neg_lo:[0,1] neg_hi:[0,1]
	v_pk_add_f16 v6, v18, v11
	v_alignbit_b32 v10, v22, v11, 16
	v_pk_add_f16 v9, v9, v8 neg_lo:[0,1] neg_hi:[0,1]
	v_sub_f16_e32 v8, v11, v20
	v_pk_add_f16 v24, v7, v0 neg_lo:[0,1] neg_hi:[0,1]
	v_pk_add_f16 v19, v19, v6
	v_pk_add_f16 v10, v10, v22 neg_lo:[0,1] neg_hi:[0,1]
	s_mov_b32 s0, 0xbb00
	v_mul_f16_e32 v17, 0x2b26, v23
	v_pk_add_f16 v20, v9, v7
	v_pk_add_f16 v23, v0, v9 neg_lo:[0,1] neg_hi:[0,1]
	v_mul_f16_e32 v8, 0x3a52, v8
	v_pk_add_f16 v6, v19, v16
	v_pk_mul_f16 v10, v10, s5
	v_pk_mul_f16 v22, v24, s0 op_sel_hi:[1,0]
	s_mov_b32 s1, 0xbcab
	v_pk_add_f16 v7, v9, v7 neg_lo:[0,1] neg_hi:[0,1]
	s_movk_i32 s5, 0x3846
	v_pk_add_f16 v0, v20, v0
	v_pk_mul_f16 v20, v23, s10 op_sel_hi:[1,0]
	v_pk_fma_f16 v16, v23, s10, v22 op_sel_hi:[1,0,1] neg_lo:[1,0,1] neg_hi:[1,0,1]
	s_mov_b32 s0, 0xb70e
	v_pk_add_f16 v18, v18, v11 neg_lo:[0,1] neg_hi:[0,1]
	v_pk_fma_f16 v19, v19, s1, v6 op_sel_hi:[1,0,1]
	v_pack_b32_f16 v23, v8, v10
	s_movk_i32 s1, 0x39e0
	v_pk_fma_f16 v9, v7, s5, v22 op_sel_hi:[1,0,1] neg_lo:[1,0,0] neg_hi:[1,0,0]
	v_bfi_b32 v25, s4, v17, v10
	v_pk_fma_f16 v8, v18, s1, v23 op_sel_hi:[1,0,1] neg_lo:[1,0,1] neg_hi:[1,0,1]
	v_pk_fma_f16 v22, v0, s0, v9 op_sel_hi:[1,0,1]
	v_pk_fma_f16 v9, v18, s1, v25 op_sel_hi:[1,0,1] neg_lo:[0,0,1] neg_hi:[0,0,1]
	v_pk_fma_f16 v16, v0, s0, v16 op_sel_hi:[1,0,1]
	v_pk_add_f16 v11, v8, v19
	v_pk_add_f16 v10, v9, v19
	;; [unrolled: 1-line block ×3, first 2 shown]
	v_pk_add_f16 v11, v11, v16 neg_lo:[0,1] neg_hi:[0,1]
	v_pk_add_f16 v9, v10, v22 neg_lo:[0,1] neg_hi:[0,1]
	v_pk_add_f16 v10, v10, v22
	v_bfi_b32 v24, s4, v8, v11
	v_bfi_b32 v18, s4, v9, v10
	ds_write2_b32 v15, v24, v18 offset0:22 offset1:33
	v_bfi_b32 v18, s4, v10, v9
	v_bfi_b32 v22, s4, v11, v8
	ds_write2_b32 v15, v18, v22 offset0:44 offset1:55
	v_pk_add_f16 v18, v25, v23
	v_pk_fma_f16 v7, v7, s5, v20 op_sel_hi:[1,0,1]
	v_pk_add_f16 v18, v18, v19
	v_pk_fma_f16 v0, v0, s0, v7 op_sel_hi:[1,0,1]
	s_movk_i32 s0, 0x4d
	v_pk_add_f16 v7, v0, v18
	v_pk_add_f16 v0, v18, v0 neg_lo:[0,1] neg_hi:[0,1]
	v_lshrrev_b32_e32 v16, 16, v8
	v_bfi_b32 v19, s4, v0, v7
	v_bfi_b32 v20, s4, v7, v0
	v_lshrrev_b32_e32 v17, 16, v9
	v_lshrrev_b32_e32 v18, 16, v0
	ds_write2_b32 v15, v6, v20 offset1:11
	ds_write_b32 v15, v19 offset:264
	v_cmp_gt_u32_e64 s[0:1], s0, v12
	v_lshrrev_b32_e32 v20, 16, v11
	v_lshrrev_b32_e32 v15, 16, v6
	;; [unrolled: 1-line block ×4, first 2 shown]
	s_waitcnt lgkmcnt(0)
	s_barrier
	s_and_saveexec_b64 s[4:5], s[0:1]
	s_cbranch_execnz .LBB0_16
; %bb.14:
	s_or_b64 exec, exec, s[4:5]
	s_and_b64 s[0:1], vcc, s[0:1]
	s_and_saveexec_b64 s[4:5], s[0:1]
	s_cbranch_execnz .LBB0_17
.LBB0_15:
	s_endpgm
.LBB0_16:
	v_add_u32_e32 v0, 0x600, v14
	ds_read2_b32 v[6:7], v14 offset1:77
	ds_read2_b32 v[8:9], v14 offset0:154 offset1:231
	ds_read2_b32 v[10:11], v21 offset0:52 offset1:129
	;; [unrolled: 1-line block ×3, first 2 shown]
	s_waitcnt lgkmcnt(3)
	v_lshrrev_b32_e32 v15, 16, v6
	v_lshrrev_b32_e32 v18, 16, v7
	s_waitcnt lgkmcnt(2)
	v_lshrrev_b32_e32 v20, 16, v8
	v_lshrrev_b32_e32 v19, 16, v9
	;; [unrolled: 3-line block ×4, first 2 shown]
	s_or_b64 exec, exec, s[4:5]
	s_and_b64 s[0:1], vcc, s[0:1]
	s_and_saveexec_b64 s[4:5], s[0:1]
	s_cbranch_execz .LBB0_15
.LBB0_17:
	v_mul_u32_u24_e32 v14, 7, v12
	v_lshlrev_b32_e32 v14, 2, v14
	global_load_dwordx4 v[24:27], v14, s[8:9] offset:264
	global_load_dwordx3 v[28:30], v14, s[8:9] offset:280
	v_mul_lo_u32 v14, s3, v4
	v_mul_lo_u32 v21, s2, v5
	v_mad_u64_u32 v[4:5], s[0:1], s2, v4, 0
	v_add3_u32 v5, v5, v21, v14
	s_movk_i32 s0, 0x39a8
	s_mov_b32 s1, 0xb9a8
	v_lshl_add_u64 v[4:5], v[4:5], 2, s[6:7]
	v_lshl_add_u64 v[2:3], v[2:3], 2, v[4:5]
	v_add_u32_e32 v5, 0x4d, v12
	s_waitcnt vmcnt(1)
	v_mul_f16_sdwa v14, v17, v27 dst_sel:DWORD dst_unused:UNUSED_PAD src0_sel:DWORD src1_sel:WORD_1
	v_mul_f16_sdwa v21, v8, v25 dst_sel:DWORD dst_unused:UNUSED_PAD src0_sel:DWORD src1_sel:WORD_1
	s_waitcnt vmcnt(0)
	v_mul_f16_sdwa v23, v0, v29 dst_sel:DWORD dst_unused:UNUSED_PAD src0_sel:DWORD src1_sel:WORD_1
	v_mul_f16_sdwa v31, v7, v24 dst_sel:DWORD dst_unused:UNUSED_PAD src0_sel:DWORD src1_sel:WORD_1
	;; [unrolled: 1-line block ×12, first 2 shown]
	v_fma_f16 v10, v10, v27, v14
	v_fma_f16 v14, v20, v25, -v21
	v_fma_f16 v20, v22, v29, -v23
	;; [unrolled: 1-line block ×4, first 2 shown]
	v_fma_f16 v9, v9, v26, v33
	v_fma_f16 v1, v1, v30, v34
	;; [unrolled: 1-line block ×4, first 2 shown]
	v_fma_f16 v19, v19, v26, -v37
	v_fma_f16 v13, v13, v30, -v38
	;; [unrolled: 1-line block ×3, first 2 shown]
	v_fma_f16 v8, v8, v25, v40
	v_fma_f16 v0, v0, v29, v41
	v_sub_f16_e32 v10, v6, v10
	v_sub_f16_e32 v20, v14, v20
	;; [unrolled: 1-line block ×8, first 2 shown]
	v_add_f16_e32 v21, v10, v20
	v_sub_f16_e32 v22, v16, v1
	v_add_f16_e32 v23, v11, v13
	v_sub_f16_e32 v24, v17, v0
	v_fma_f16 v6, v6, 2.0, -v10
	v_fma_f16 v0, v8, 2.0, -v0
	;; [unrolled: 1-line block ×8, first 2 shown]
	v_fma_f16 v9, v23, s0, v21
	v_fma_f16 v18, v22, s0, v24
	v_sub_f16_e32 v0, v6, v0
	v_sub_f16_e32 v13, v8, v13
	;; [unrolled: 1-line block ×4, first 2 shown]
	v_fma_f16 v10, v10, 2.0, -v21
	v_fma_f16 v16, v16, 2.0, -v22
	;; [unrolled: 1-line block ×4, first 2 shown]
	v_fma_f16 v9, v22, s0, v9
	v_fma_f16 v18, v23, s1, v18
	v_add_f16_e32 v19, v0, v13
	v_sub_f16_e32 v20, v14, v1
	v_fma_f16 v22, v11, s1, v10
	v_fma_f16 v23, v16, s1, v17
	v_fma_f16 v6, v6, 2.0, -v0
	v_fma_f16 v1, v7, 2.0, -v1
	;; [unrolled: 1-line block ×5, first 2 shown]
	v_fma_f16 v16, v16, s0, v22
	v_fma_f16 v11, v11, s1, v23
	v_sub_f16_e32 v21, v6, v1
	v_fma_f16 v22, v0, 2.0, -v19
	v_mad_u64_u32 v[0:1], s[0:1], s16, v12, 0
	v_sub_f16_e32 v8, v7, v8
	v_fma_f16 v23, v6, 2.0, -v21
	v_mov_b32_e32 v6, v1
	v_fma_f16 v15, v24, 2.0, -v18
	v_fma_f16 v24, v7, 2.0, -v8
	v_mad_u64_u32 v[6:7], s[0:1], s17, v12, v[6:7]
	v_mov_b32_e32 v1, v6
	v_lshl_add_u64 v[0:1], v[0:1], 2, v[2:3]
	v_pack_b32_f16 v4, v23, v24
	global_store_dword v[0:1], v4, off
	v_mad_u64_u32 v[0:1], s[0:1], s16, v5, 0
	v_mov_b32_e32 v4, v1
	v_mad_u64_u32 v[4:5], s[0:1], s17, v5, v[4:5]
	v_fma_f16 v10, v10, 2.0, -v16
	v_fma_f16 v17, v17, 2.0, -v11
	v_mov_b32_e32 v1, v4
	v_lshl_add_u64 v[0:1], v[0:1], 2, v[2:3]
	v_pack_b32_f16 v4, v10, v17
	v_add_u32_e32 v5, 0x9a, v12
	global_store_dword v[0:1], v4, off
	v_mad_u64_u32 v[0:1], s[0:1], s16, v5, 0
	v_mov_b32_e32 v4, v1
	v_mad_u64_u32 v[4:5], s[0:1], s17, v5, v[4:5]
	v_fma_f16 v14, v14, 2.0, -v20
	v_mov_b32_e32 v1, v4
	v_lshl_add_u64 v[0:1], v[0:1], 2, v[2:3]
	v_pack_b32_f16 v4, v22, v14
	v_add_u32_e32 v5, 0xe7, v12
	global_store_dword v[0:1], v4, off
	v_mad_u64_u32 v[0:1], s[0:1], s16, v5, 0
	v_mov_b32_e32 v4, v1
	v_mad_u64_u32 v[4:5], s[0:1], s17, v5, v[4:5]
	v_mov_b32_e32 v1, v4
	v_lshl_add_u64 v[0:1], v[0:1], 2, v[2:3]
	v_pack_b32_f16 v4, v13, v15
	v_add_u32_e32 v5, 0x134, v12
	global_store_dword v[0:1], v4, off
	v_mad_u64_u32 v[0:1], s[0:1], s16, v5, 0
	v_mov_b32_e32 v4, v1
	v_mad_u64_u32 v[4:5], s[0:1], s17, v5, v[4:5]
	;; [unrolled: 8-line block ×5, first 2 shown]
	v_mov_b32_e32 v1, v4
	v_lshl_add_u64 v[0:1], v[0:1], 2, v[2:3]
	v_pack_b32_f16 v2, v9, v18
	global_store_dword v[0:1], v2, off
	s_endpgm
	.section	.rodata,"a",@progbits
	.p2align	6, 0x0
	.amdhsa_kernel fft_rtc_back_len616_factors_11_7_8_wgs_88_tpt_88_half_op_CI_CI_sbrr_dirReg
		.amdhsa_group_segment_fixed_size 0
		.amdhsa_private_segment_fixed_size 0
		.amdhsa_kernarg_size 104
		.amdhsa_user_sgpr_count 2
		.amdhsa_user_sgpr_dispatch_ptr 0
		.amdhsa_user_sgpr_queue_ptr 0
		.amdhsa_user_sgpr_kernarg_segment_ptr 1
		.amdhsa_user_sgpr_dispatch_id 0
		.amdhsa_user_sgpr_kernarg_preload_length 0
		.amdhsa_user_sgpr_kernarg_preload_offset 0
		.amdhsa_user_sgpr_private_segment_size 0
		.amdhsa_uses_dynamic_stack 0
		.amdhsa_enable_private_segment 0
		.amdhsa_system_sgpr_workgroup_id_x 1
		.amdhsa_system_sgpr_workgroup_id_y 0
		.amdhsa_system_sgpr_workgroup_id_z 0
		.amdhsa_system_sgpr_workgroup_info 0
		.amdhsa_system_vgpr_workitem_id 0
		.amdhsa_next_free_vgpr 73
		.amdhsa_next_free_sgpr 32
		.amdhsa_accum_offset 76
		.amdhsa_reserve_vcc 1
		.amdhsa_float_round_mode_32 0
		.amdhsa_float_round_mode_16_64 0
		.amdhsa_float_denorm_mode_32 3
		.amdhsa_float_denorm_mode_16_64 3
		.amdhsa_dx10_clamp 1
		.amdhsa_ieee_mode 1
		.amdhsa_fp16_overflow 0
		.amdhsa_tg_split 0
		.amdhsa_exception_fp_ieee_invalid_op 0
		.amdhsa_exception_fp_denorm_src 0
		.amdhsa_exception_fp_ieee_div_zero 0
		.amdhsa_exception_fp_ieee_overflow 0
		.amdhsa_exception_fp_ieee_underflow 0
		.amdhsa_exception_fp_ieee_inexact 0
		.amdhsa_exception_int_div_zero 0
	.end_amdhsa_kernel
	.text
.Lfunc_end0:
	.size	fft_rtc_back_len616_factors_11_7_8_wgs_88_tpt_88_half_op_CI_CI_sbrr_dirReg, .Lfunc_end0-fft_rtc_back_len616_factors_11_7_8_wgs_88_tpt_88_half_op_CI_CI_sbrr_dirReg
                                        ; -- End function
	.section	.AMDGPU.csdata,"",@progbits
; Kernel info:
; codeLenInByte = 6132
; NumSgprs: 38
; NumVgprs: 73
; NumAgprs: 0
; TotalNumVgprs: 73
; ScratchSize: 0
; MemoryBound: 0
; FloatMode: 240
; IeeeMode: 1
; LDSByteSize: 0 bytes/workgroup (compile time only)
; SGPRBlocks: 4
; VGPRBlocks: 9
; NumSGPRsForWavesPerEU: 38
; NumVGPRsForWavesPerEU: 73
; AccumOffset: 76
; Occupancy: 6
; WaveLimiterHint : 1
; COMPUTE_PGM_RSRC2:SCRATCH_EN: 0
; COMPUTE_PGM_RSRC2:USER_SGPR: 2
; COMPUTE_PGM_RSRC2:TRAP_HANDLER: 0
; COMPUTE_PGM_RSRC2:TGID_X_EN: 1
; COMPUTE_PGM_RSRC2:TGID_Y_EN: 0
; COMPUTE_PGM_RSRC2:TGID_Z_EN: 0
; COMPUTE_PGM_RSRC2:TIDIG_COMP_CNT: 0
; COMPUTE_PGM_RSRC3_GFX90A:ACCUM_OFFSET: 18
; COMPUTE_PGM_RSRC3_GFX90A:TG_SPLIT: 0
	.text
	.p2alignl 6, 3212836864
	.fill 256, 4, 3212836864
	.type	__hip_cuid_7953801070dca4a6,@object ; @__hip_cuid_7953801070dca4a6
	.section	.bss,"aw",@nobits
	.globl	__hip_cuid_7953801070dca4a6
__hip_cuid_7953801070dca4a6:
	.byte	0                               ; 0x0
	.size	__hip_cuid_7953801070dca4a6, 1

	.ident	"AMD clang version 19.0.0git (https://github.com/RadeonOpenCompute/llvm-project roc-6.4.0 25133 c7fe45cf4b819c5991fe208aaa96edf142730f1d)"
	.section	".note.GNU-stack","",@progbits
	.addrsig
	.addrsig_sym __hip_cuid_7953801070dca4a6
	.amdgpu_metadata
---
amdhsa.kernels:
  - .agpr_count:     0
    .args:
      - .actual_access:  read_only
        .address_space:  global
        .offset:         0
        .size:           8
        .value_kind:     global_buffer
      - .offset:         8
        .size:           8
        .value_kind:     by_value
      - .actual_access:  read_only
        .address_space:  global
        .offset:         16
        .size:           8
        .value_kind:     global_buffer
      - .actual_access:  read_only
        .address_space:  global
        .offset:         24
        .size:           8
        .value_kind:     global_buffer
      - .actual_access:  read_only
        .address_space:  global
        .offset:         32
        .size:           8
        .value_kind:     global_buffer
      - .offset:         40
        .size:           8
        .value_kind:     by_value
      - .actual_access:  read_only
        .address_space:  global
        .offset:         48
        .size:           8
        .value_kind:     global_buffer
      - .actual_access:  read_only
        .address_space:  global
        .offset:         56
        .size:           8
        .value_kind:     global_buffer
      - .offset:         64
        .size:           4
        .value_kind:     by_value
      - .actual_access:  read_only
        .address_space:  global
        .offset:         72
        .size:           8
        .value_kind:     global_buffer
      - .actual_access:  read_only
        .address_space:  global
        .offset:         80
        .size:           8
        .value_kind:     global_buffer
      - .actual_access:  read_only
        .address_space:  global
        .offset:         88
        .size:           8
        .value_kind:     global_buffer
      - .actual_access:  write_only
        .address_space:  global
        .offset:         96
        .size:           8
        .value_kind:     global_buffer
    .group_segment_fixed_size: 0
    .kernarg_segment_align: 8
    .kernarg_segment_size: 104
    .language:       OpenCL C
    .language_version:
      - 2
      - 0
    .max_flat_workgroup_size: 88
    .name:           fft_rtc_back_len616_factors_11_7_8_wgs_88_tpt_88_half_op_CI_CI_sbrr_dirReg
    .private_segment_fixed_size: 0
    .sgpr_count:     38
    .sgpr_spill_count: 0
    .symbol:         fft_rtc_back_len616_factors_11_7_8_wgs_88_tpt_88_half_op_CI_CI_sbrr_dirReg.kd
    .uniform_work_group_size: 1
    .uses_dynamic_stack: false
    .vgpr_count:     73
    .vgpr_spill_count: 0
    .wavefront_size: 64
amdhsa.target:   amdgcn-amd-amdhsa--gfx950
amdhsa.version:
  - 1
  - 2
...

	.end_amdgpu_metadata
